;; amdgpu-corpus repo=ROCm/rocFFT kind=compiled arch=gfx950 opt=O3
	.text
	.amdgcn_target "amdgcn-amd-amdhsa--gfx950"
	.amdhsa_code_object_version 6
	.protected	fft_rtc_fwd_len616_factors_11_7_8_wgs_88_tpt_88_sp_op_CI_CI_unitstride_sbrr_dirReg ; -- Begin function fft_rtc_fwd_len616_factors_11_7_8_wgs_88_tpt_88_sp_op_CI_CI_unitstride_sbrr_dirReg
	.globl	fft_rtc_fwd_len616_factors_11_7_8_wgs_88_tpt_88_sp_op_CI_CI_unitstride_sbrr_dirReg
	.p2align	8
	.type	fft_rtc_fwd_len616_factors_11_7_8_wgs_88_tpt_88_sp_op_CI_CI_unitstride_sbrr_dirReg,@function
fft_rtc_fwd_len616_factors_11_7_8_wgs_88_tpt_88_sp_op_CI_CI_unitstride_sbrr_dirReg: ; @fft_rtc_fwd_len616_factors_11_7_8_wgs_88_tpt_88_sp_op_CI_CI_unitstride_sbrr_dirReg
; %bb.0:
	s_load_dwordx4 s[4:7], s[0:1], 0x58
	s_load_dwordx4 s[8:11], s[0:1], 0x0
	;; [unrolled: 1-line block ×3, first 2 shown]
	v_mul_u32_u24_e32 v1, 0x2e9, v0
	v_add_u32_sdwa v6, s2, v1 dst_sel:DWORD dst_unused:UNUSED_PAD src0_sel:DWORD src1_sel:WORD_1
	v_mov_b32_e32 v4, 0
	s_waitcnt lgkmcnt(0)
	v_cmp_lt_u64_e64 s[2:3], s[10:11], 2
	v_mov_b32_e32 v7, v4
	s_and_b64 vcc, exec, s[2:3]
	v_mov_b64_e32 v[2:3], 0
	s_cbranch_vccnz .LBB0_8
; %bb.1:
	s_load_dwordx2 s[2:3], s[0:1], 0x10
	s_add_u32 s16, s14, 8
	s_addc_u32 s17, s15, 0
	s_add_u32 s18, s12, 8
	s_addc_u32 s19, s13, 0
	s_waitcnt lgkmcnt(0)
	s_add_u32 s20, s2, 8
	v_mov_b64_e32 v[2:3], 0
	s_addc_u32 s21, s3, 0
	s_mov_b64 s[22:23], 1
	v_mov_b64_e32 v[16:17], v[2:3]
.LBB0_2:                                ; =>This Inner Loop Header: Depth=1
	s_load_dwordx2 s[24:25], s[20:21], 0x0
                                        ; implicit-def: $vgpr18_vgpr19
	s_waitcnt lgkmcnt(0)
	v_or_b32_e32 v5, s25, v7
	v_cmp_ne_u64_e32 vcc, 0, v[4:5]
	s_and_saveexec_b64 s[2:3], vcc
	s_xor_b64 s[26:27], exec, s[2:3]
	s_cbranch_execz .LBB0_4
; %bb.3:                                ;   in Loop: Header=BB0_2 Depth=1
	v_cvt_f32_u32_e32 v1, s24
	v_cvt_f32_u32_e32 v5, s25
	s_sub_u32 s2, 0, s24
	s_subb_u32 s3, 0, s25
	v_fmac_f32_e32 v1, 0x4f800000, v5
	v_rcp_f32_e32 v1, v1
	s_nop 0
	v_mul_f32_e32 v1, 0x5f7ffffc, v1
	v_mul_f32_e32 v5, 0x2f800000, v1
	v_trunc_f32_e32 v5, v5
	v_fmac_f32_e32 v1, 0xcf800000, v5
	v_cvt_u32_f32_e32 v5, v5
	v_cvt_u32_f32_e32 v1, v1
	v_mul_lo_u32 v8, s2, v5
	v_mul_hi_u32 v10, s2, v1
	v_mul_lo_u32 v9, s3, v1
	v_add_u32_e32 v10, v10, v8
	v_mul_lo_u32 v12, s2, v1
	v_add_u32_e32 v13, v10, v9
	v_mul_hi_u32 v8, v1, v12
	v_mul_hi_u32 v11, v1, v13
	v_mul_lo_u32 v10, v1, v13
	v_mov_b32_e32 v9, v4
	v_lshl_add_u64 v[8:9], v[8:9], 0, v[10:11]
	v_mul_hi_u32 v11, v5, v12
	v_mul_lo_u32 v12, v5, v12
	v_add_co_u32_e32 v8, vcc, v8, v12
	v_mul_hi_u32 v10, v5, v13
	s_nop 0
	v_addc_co_u32_e32 v8, vcc, v9, v11, vcc
	v_mov_b32_e32 v9, v4
	s_nop 0
	v_addc_co_u32_e32 v11, vcc, 0, v10, vcc
	v_mul_lo_u32 v10, v5, v13
	v_lshl_add_u64 v[8:9], v[8:9], 0, v[10:11]
	v_add_co_u32_e32 v1, vcc, v1, v8
	v_mul_lo_u32 v10, s2, v1
	s_nop 0
	v_addc_co_u32_e32 v5, vcc, v5, v9, vcc
	v_mul_lo_u32 v8, s2, v5
	v_mul_hi_u32 v9, s2, v1
	v_add_u32_e32 v8, v9, v8
	v_mul_lo_u32 v9, s3, v1
	v_add_u32_e32 v12, v8, v9
	v_mul_hi_u32 v14, v5, v10
	v_mul_lo_u32 v15, v5, v10
	v_mul_hi_u32 v9, v1, v12
	v_mul_lo_u32 v8, v1, v12
	v_mul_hi_u32 v10, v1, v10
	v_mov_b32_e32 v11, v4
	v_lshl_add_u64 v[8:9], v[10:11], 0, v[8:9]
	v_add_co_u32_e32 v8, vcc, v8, v15
	v_mul_hi_u32 v13, v5, v12
	s_nop 0
	v_addc_co_u32_e32 v8, vcc, v9, v14, vcc
	v_mul_lo_u32 v10, v5, v12
	s_nop 0
	v_addc_co_u32_e32 v11, vcc, 0, v13, vcc
	v_mov_b32_e32 v9, v4
	v_lshl_add_u64 v[8:9], v[8:9], 0, v[10:11]
	v_add_co_u32_e32 v1, vcc, v1, v8
	v_mul_hi_u32 v10, v6, v1
	s_nop 0
	v_addc_co_u32_e32 v5, vcc, v5, v9, vcc
	v_mad_u64_u32 v[8:9], s[2:3], v6, v5, 0
	v_mov_b32_e32 v11, v4
	v_lshl_add_u64 v[8:9], v[10:11], 0, v[8:9]
	v_mad_u64_u32 v[12:13], s[2:3], v7, v1, 0
	v_add_co_u32_e32 v1, vcc, v8, v12
	v_mad_u64_u32 v[10:11], s[2:3], v7, v5, 0
	s_nop 0
	v_addc_co_u32_e32 v8, vcc, v9, v13, vcc
	v_mov_b32_e32 v9, v4
	s_nop 0
	v_addc_co_u32_e32 v11, vcc, 0, v11, vcc
	v_lshl_add_u64 v[8:9], v[8:9], 0, v[10:11]
	v_mul_lo_u32 v1, s25, v8
	v_mul_lo_u32 v5, s24, v9
	v_mad_u64_u32 v[10:11], s[2:3], s24, v8, 0
	v_add3_u32 v1, v11, v5, v1
	v_sub_u32_e32 v5, v7, v1
	v_mov_b32_e32 v11, s25
	v_sub_co_u32_e32 v14, vcc, v6, v10
	v_lshl_add_u64 v[12:13], v[8:9], 0, 1
	s_nop 0
	v_subb_co_u32_e64 v5, s[2:3], v5, v11, vcc
	v_subrev_co_u32_e64 v10, s[2:3], s24, v14
	v_subb_co_u32_e32 v1, vcc, v7, v1, vcc
	s_nop 0
	v_subbrev_co_u32_e64 v5, s[2:3], 0, v5, s[2:3]
	v_cmp_le_u32_e64 s[2:3], s25, v5
	v_cmp_le_u32_e32 vcc, s25, v1
	s_nop 0
	v_cndmask_b32_e64 v11, 0, -1, s[2:3]
	v_cmp_le_u32_e64 s[2:3], s24, v10
	s_nop 1
	v_cndmask_b32_e64 v10, 0, -1, s[2:3]
	v_cmp_eq_u32_e64 s[2:3], s25, v5
	s_nop 1
	v_cndmask_b32_e64 v5, v11, v10, s[2:3]
	v_lshl_add_u64 v[10:11], v[8:9], 0, 2
	v_cmp_ne_u32_e64 s[2:3], 0, v5
	s_nop 1
	v_cndmask_b32_e64 v5, v13, v11, s[2:3]
	v_cndmask_b32_e64 v11, 0, -1, vcc
	v_cmp_le_u32_e32 vcc, s24, v14
	s_nop 1
	v_cndmask_b32_e64 v13, 0, -1, vcc
	v_cmp_eq_u32_e32 vcc, s25, v1
	s_nop 1
	v_cndmask_b32_e32 v1, v11, v13, vcc
	v_cmp_ne_u32_e32 vcc, 0, v1
	v_cndmask_b32_e64 v1, v12, v10, s[2:3]
	s_nop 0
	v_cndmask_b32_e32 v19, v9, v5, vcc
	v_cndmask_b32_e32 v18, v8, v1, vcc
.LBB0_4:                                ;   in Loop: Header=BB0_2 Depth=1
	s_andn2_saveexec_b64 s[2:3], s[26:27]
	s_cbranch_execz .LBB0_6
; %bb.5:                                ;   in Loop: Header=BB0_2 Depth=1
	v_cvt_f32_u32_e32 v1, s24
	s_sub_i32 s26, 0, s24
	v_mov_b32_e32 v19, v4
	v_rcp_iflag_f32_e32 v1, v1
	s_nop 0
	v_mul_f32_e32 v1, 0x4f7ffffe, v1
	v_cvt_u32_f32_e32 v1, v1
	v_mul_lo_u32 v5, s26, v1
	v_mul_hi_u32 v5, v1, v5
	v_add_u32_e32 v1, v1, v5
	v_mul_hi_u32 v1, v6, v1
	v_mul_lo_u32 v5, v1, s24
	v_sub_u32_e32 v5, v6, v5
	v_add_u32_e32 v8, 1, v1
	v_subrev_u32_e32 v9, s24, v5
	v_cmp_le_u32_e32 vcc, s24, v5
	s_nop 1
	v_cndmask_b32_e32 v5, v5, v9, vcc
	v_cndmask_b32_e32 v1, v1, v8, vcc
	v_add_u32_e32 v8, 1, v1
	v_cmp_le_u32_e32 vcc, s24, v5
	s_nop 1
	v_cndmask_b32_e32 v18, v1, v8, vcc
.LBB0_6:                                ;   in Loop: Header=BB0_2 Depth=1
	s_or_b64 exec, exec, s[2:3]
	v_mad_u64_u32 v[8:9], s[2:3], v18, s24, 0
	s_load_dwordx2 s[2:3], s[18:19], 0x0
	v_mul_lo_u32 v1, v19, s24
	v_mul_lo_u32 v5, v18, s25
	s_load_dwordx2 s[24:25], s[16:17], 0x0
	s_add_u32 s22, s22, 1
	v_add3_u32 v1, v9, v5, v1
	v_sub_co_u32_e32 v5, vcc, v6, v8
	s_addc_u32 s23, s23, 0
	s_nop 0
	v_subb_co_u32_e32 v1, vcc, v7, v1, vcc
	s_add_u32 s16, s16, 8
	s_waitcnt lgkmcnt(0)
	v_mul_lo_u32 v6, s2, v1
	v_mul_lo_u32 v7, s3, v5
	v_mad_u64_u32 v[2:3], s[2:3], s2, v5, v[2:3]
	s_addc_u32 s17, s17, 0
	v_add3_u32 v3, v7, v3, v6
	v_mul_lo_u32 v1, s24, v1
	v_mul_lo_u32 v6, s25, v5
	v_mad_u64_u32 v[16:17], s[2:3], s24, v5, v[16:17]
	s_add_u32 s18, s18, 8
	v_add3_u32 v17, v6, v17, v1
	s_addc_u32 s19, s19, 0
	v_mov_b64_e32 v[6:7], s[10:11]
	s_add_u32 s20, s20, 8
	v_cmp_ge_u64_e32 vcc, s[22:23], v[6:7]
	s_addc_u32 s21, s21, 0
	s_cbranch_vccnz .LBB0_9
; %bb.7:                                ;   in Loop: Header=BB0_2 Depth=1
	v_mov_b64_e32 v[6:7], v[18:19]
	s_branch .LBB0_2
.LBB0_8:
	v_mov_b64_e32 v[16:17], v[2:3]
	v_mov_b64_e32 v[18:19], v[6:7]
.LBB0_9:
	s_load_dwordx2 s[0:1], s[0:1], 0x28
	s_mov_b32 s16, 0x2e8ba2f
	v_mul_hi_u32 v1, v0, s16
	v_mul_u32_u24_e32 v1, 0x58, v1
	s_lshl_b64 s[2:3], s[10:11], 3
	v_sub_u32_e32 v20, v0, v1
	s_add_u32 s10, s14, s2
	s_waitcnt lgkmcnt(0)
	v_cmp_gt_u64_e32 vcc, s[0:1], v[18:19]
	v_cmp_gt_u32_e64 s[0:1], 56, v20
	v_mov_b32_e32 v0, 0
	s_addc_u32 s11, s15, s3
	s_and_b64 s[16:17], vcc, s[0:1]
	v_mov_b32_e32 v1, v0
                                        ; implicit-def: $vgpr30
                                        ; implicit-def: $vgpr34
                                        ; implicit-def: $vgpr38
                                        ; implicit-def: $vgpr28
                                        ; implicit-def: $vgpr36
                                        ; implicit-def: $vgpr40
                                        ; implicit-def: $vgpr42
                                        ; implicit-def: $vgpr44
                                        ; implicit-def: $vgpr46
                                        ; implicit-def: $vgpr48
	s_and_saveexec_b64 s[14:15], s[16:17]
	s_cbranch_execz .LBB0_11
; %bb.10:
	s_add_u32 s2, s12, s2
	s_addc_u32 s3, s13, s3
	s_load_dwordx2 s[2:3], s[2:3], 0x0
	v_mov_b32_e32 v21, 0
	s_waitcnt lgkmcnt(0)
	v_mul_lo_u32 v4, s3, v18
	v_mul_lo_u32 v5, s2, v19
	v_mad_u64_u32 v[0:1], s[2:3], s2, v18, 0
	v_add3_u32 v1, v1, v5, v4
	v_lshl_add_u64 v[0:1], v[0:1], 3, s[4:5]
	v_lshl_add_u64 v[0:1], v[2:3], 3, v[0:1]
	;; [unrolled: 1-line block ×3, first 2 shown]
	global_load_dwordx2 v[0:1], v[2:3], off
	global_load_dwordx2 v[28:29], v[2:3], off offset:448
	global_load_dwordx2 v[36:37], v[2:3], off offset:896
	;; [unrolled: 1-line block ×7, first 2 shown]
	s_movk_i32 s2, 0x1000
	v_add_co_u32_e64 v4, s[2:3], s2, v2
	s_nop 1
	v_addc_co_u32_e64 v5, s[2:3], 0, v3, s[2:3]
	global_load_dwordx2 v[38:39], v[2:3], off offset:3584
	global_load_dwordx2 v[34:35], v[2:3], off offset:4032
	;; [unrolled: 1-line block ×3, first 2 shown]
.LBB0_11:
	s_or_b64 exec, exec, s[14:15]
	s_waitcnt vmcnt(0)
	v_pk_add_f32 v[24:25], v[28:29], v[30:31]
	v_pk_add_f32 v[2:3], v[28:29], v[30:31] neg_lo:[0,1] neg_hi:[0,1]
	v_pk_add_f32 v[4:5], v[28:29], v[30:31]
	v_mov_b32_e32 v25, v2
	v_mov_b32_e32 v4, v3
	v_pk_add_f32 v[32:33], v[36:37], v[34:35]
	v_pk_add_f32 v[2:3], v[36:37], v[34:35] neg_lo:[0,1] neg_hi:[0,1]
	v_pk_add_f32 v[6:7], v[36:37], v[34:35]
	s_mov_b32 s2, 0xbf4178ce
	v_mov_b32_e32 v33, v2
	v_mov_b32_e32 v6, v3
	v_pk_add_f32 v[14:15], v[40:41], v[38:39]
	v_pk_add_f32 v[2:3], v[40:41], v[38:39] neg_lo:[0,1] neg_hi:[0,1]
	v_pk_add_f32 v[8:9], v[40:41], v[38:39]
	s_mov_b32 s3, 0xbf27a4f4
	s_mov_b32 s14, 0x3f7d64f0
	v_mov_b32_e32 v15, v2
	v_mov_b32_e32 v8, v3
	v_pk_add_f32 v[22:23], v[42:43], v[48:49]
	v_pk_add_f32 v[2:3], v[42:43], v[48:49] neg_lo:[0,1] neg_hi:[0,1]
	v_pk_add_f32 v[10:11], v[42:43], v[48:49]
	s_mov_b32 s22, s3
	s_mov_b32 s23, s2
	;; [unrolled: 1-line block ×3, first 2 shown]
	v_mov_b32_e32 v23, v2
	v_mov_b32_e32 v10, v3
	v_pk_add_f32 v[26:27], v[44:45], v[46:47]
	v_pk_add_f32 v[2:3], v[44:45], v[46:47] neg_lo:[0,1] neg_hi:[0,1]
	v_pk_add_f32 v[12:13], v[44:45], v[46:47]
	v_pk_mul_f32 v[52:53], v[24:25], s[22:23]
	s_mov_b32 s30, s15
	s_mov_b32 s31, s14
	;; [unrolled: 1-line block ×3, first 2 shown]
	v_mov_b32_e32 v27, v2
	v_mov_b32_e32 v12, v3
	v_pk_fma_f32 v[50:51], v[4:5], s[2:3], v[52:53]
	v_pk_fma_f32 v[2:3], v[4:5], s[2:3], v[52:53] neg_lo:[0,0,1] neg_hi:[0,0,1]
	v_pk_mul_f32 v[56:57], v[32:33], s[30:31]
	s_mov_b32 s13, 0x3f575c64
	v_mov_b32_e32 v2, v50
	v_pk_fma_f32 v[54:55], v[6:7], s[14:15], v[56:57]
	v_pk_fma_f32 v[58:59], v[6:7], s[14:15], v[56:57] neg_lo:[0,0,1] neg_hi:[0,0,1]
	s_mov_b32 s34, s13
	s_mov_b32 s35, s12
	;; [unrolled: 1-line block ×3, first 2 shown]
	v_pk_add_f32 v[2:3], v[0:1], v[2:3]
	v_mov_b32_e32 v58, v54
	v_pk_mul_f32 v[60:61], v[14:15], s[34:35]
	s_mov_b32 s5, 0xbf75a155
	v_pk_add_f32 v[2:3], v[2:3], v[58:59]
	v_pk_fma_f32 v[58:59], v[8:9], s[12:13], v[60:61]
	v_pk_fma_f32 v[62:63], v[8:9], s[12:13], v[60:61] neg_lo:[0,0,1] neg_hi:[0,0,1]
	s_mov_b32 s26, s5
	s_mov_b32 s27, s4
	;; [unrolled: 1-line block ×3, first 2 shown]
	v_mov_b32_e32 v62, v58
	v_pk_mul_f32 v[64:65], v[22:23], s[26:27]
	s_mov_b32 s19, 0x3ed4b147
	v_pk_add_f32 v[2:3], v[2:3], v[62:63]
	v_pk_fma_f32 v[62:63], v[10:11], s[4:5], v[64:65]
	v_pk_fma_f32 v[66:67], v[10:11], s[4:5], v[64:65] neg_lo:[0,0,1] neg_hi:[0,0,1]
	s_mov_b32 s24, s19
	s_mov_b32 s25, s18
	v_mov_b32_e32 v66, v62
	v_pk_mul_f32 v[68:69], v[26:27], s[24:25]
	v_pk_add_f32 v[2:3], v[2:3], v[66:67]
	v_pk_fma_f32 v[66:67], v[12:13], s[18:19], v[68:69]
	v_pk_fma_f32 v[70:71], v[12:13], s[18:19], v[68:69] neg_lo:[0,0,1] neg_hi:[0,0,1]
	s_nop 0
	v_mov_b32_e32 v70, v66
	v_pk_add_f32 v[2:3], v[70:71], v[2:3]
	s_and_saveexec_b64 s[16:17], s[0:1]
	s_cbranch_execz .LBB0_13
; %bb.12:
	v_pk_add_f32 v[28:29], v[0:1], v[28:29]
	s_mov_b32 s29, 0xbf68dda4
	v_pk_add_f32 v[28:29], v[28:29], v[36:37]
	s_mov_b32 s28, s19
	;; [unrolled: 2-line block ×8, first 2 shown]
	v_pk_add_f32 v[28:29], v[34:35], v[28:29]
	s_movk_i32 s33, 0x58
	v_pk_add_f32 v[70:71], v[30:31], v[28:29]
	v_pk_mul_f32 v[30:31], v[24:25], s[34:35]
	v_mad_u32_u24 v21, v20, s33, 0
	v_pk_fma_f32 v[34:35], v[4:5], s[12:13], v[30:31] neg_lo:[1,0,0] neg_hi:[1,0,0]
	v_pk_fma_f32 v[28:29], v[4:5], s[12:13], v[30:31]
	v_pk_mul_f32 v[76:77], v[32:33], s[22:23]
	v_mov_b32_e32 v35, v29
	v_pk_add_f32 v[38:39], v[0:1], v[34:35]
	v_pk_mul_f32 v[34:35], v[32:33], s[28:29]
	v_pk_fma_f32 v[78:79], v[6:7], s[2:3], v[76:77] neg_lo:[1,0,0] neg_hi:[1,0,0]
	v_pk_fma_f32 v[40:41], v[6:7], s[0:1], v[34:35] neg_lo:[1,0,0] neg_hi:[1,0,0]
	v_pk_fma_f32 v[36:37], v[6:7], s[0:1], v[34:35]
	v_pk_fma_f32 v[80:81], v[6:7], s[2:3], v[76:77]
	v_mov_b32_e32 v41, v37
	v_pk_add_f32 v[42:43], v[38:39], v[40:41]
	v_pk_mul_f32 v[38:39], v[14:15], s[36:37]
	v_mov_b32_e32 v79, v81
	v_pk_fma_f32 v[44:45], v[8:9], s[20:21], v[38:39] neg_lo:[1,0,0] neg_hi:[1,0,0]
	v_pk_fma_f32 v[40:41], v[8:9], s[20:21], v[38:39]
	s_mov_b32 s39, 0x3e903f40
	v_mov_b32_e32 v45, v41
	v_pk_add_f32 v[46:47], v[42:43], v[44:45]
	v_pk_mul_f32 v[44:45], v[22:23], s[22:23]
	s_mov_b32 s38, s5
	v_pk_fma_f32 v[48:49], v[10:11], s[2:3], v[44:45] neg_lo:[1,0,0] neg_hi:[1,0,0]
	v_pk_fma_f32 v[42:43], v[10:11], s[2:3], v[44:45]
	s_mov_b32 s41, 0x3f0a6770
	v_mov_b32_e32 v49, v43
	v_pk_add_f32 v[72:73], v[46:47], v[48:49]
	v_pk_mul_f32 v[48:49], v[26:27], s[26:27]
	s_mov_b32 s40, s13
	v_pk_fma_f32 v[74:75], v[12:13], s[4:5], v[48:49] neg_lo:[1,0,0] neg_hi:[1,0,0]
	v_pk_fma_f32 v[46:47], v[12:13], s[4:5], v[48:49]
	v_pk_mul_f32 v[98:99], v[32:33], s[38:39]
	v_mov_b32_e32 v75, v47
	v_pk_add_f32 v[72:73], v[74:75], v[72:73]
	ds_write2_b64 v21, v[70:71], v[72:73] offset1:1
	v_pk_mul_f32 v[70:71], v[24:25], s[28:29]
	s_mov_b32 s28, s39
	v_pk_fma_f32 v[72:73], v[4:5], s[0:1], v[70:71] neg_lo:[1,0,0] neg_hi:[1,0,0]
	v_pk_fma_f32 v[74:75], v[4:5], s[0:1], v[70:71]
	s_mov_b32 s29, s5
	v_mov_b32_e32 v73, v75
	v_pk_add_f32 v[72:73], v[0:1], v[72:73]
	v_pk_fma_f32 v[100:101], v[6:7], s[28:29], v[98:99] neg_lo:[1,0,0] neg_hi:[1,0,0]
	v_pk_add_f32 v[72:73], v[72:73], v[78:79]
	v_pk_mul_f32 v[78:79], v[14:15], s[38:39]
	v_pk_fma_f32 v[102:103], v[6:7], s[28:29], v[98:99]
	v_pk_fma_f32 v[82:83], v[8:9], s[28:29], v[78:79] neg_lo:[1,0,0] neg_hi:[1,0,0]
	v_pk_fma_f32 v[84:85], v[8:9], s[28:29], v[78:79]
	v_mov_b32_e32 v101, v103
	v_mov_b32_e32 v83, v85
	v_pk_add_f32 v[72:73], v[72:73], v[82:83]
	v_pk_mul_f32 v[82:83], v[22:23], s[30:31]
	s_mov_b32 s30, s41
	v_pk_fma_f32 v[86:87], v[10:11], s[14:15], v[82:83] neg_lo:[1,0,0] neg_hi:[1,0,0]
	v_pk_fma_f32 v[88:89], v[10:11], s[14:15], v[82:83]
	s_mov_b32 s31, s13
	v_mov_b32_e32 v87, v89
	v_pk_add_f32 v[72:73], v[72:73], v[86:87]
	v_pk_mul_f32 v[86:87], v[26:27], s[40:41]
	v_pk_mul_f32 v[32:33], v[32:33], s[40:41]
	v_pk_fma_f32 v[90:91], v[12:13], s[30:31], v[86:87] neg_lo:[1,0,0] neg_hi:[1,0,0]
	v_pk_fma_f32 v[92:93], v[12:13], s[30:31], v[86:87]
	s_nop 0
	v_mov_b32_e32 v91, v93
	v_pk_add_f32 v[72:73], v[90:91], v[72:73]
	v_pk_mul_f32 v[90:91], v[24:25], s[36:37]
	v_pk_mul_f32 v[24:25], v[24:25], s[26:27]
	v_pk_fma_f32 v[94:95], v[4:5], s[20:21], v[90:91] neg_lo:[1,0,0] neg_hi:[1,0,0]
	v_pk_fma_f32 v[96:97], v[4:5], s[20:21], v[90:91]
	s_nop 0
	v_mov_b32_e32 v95, v97
	v_pk_add_f32 v[94:95], v[0:1], v[94:95]
	s_nop 0
	v_pk_add_f32 v[94:95], v[94:95], v[100:101]
	v_pk_mul_f32 v[100:101], v[14:15], s[24:25]
	v_pk_mul_f32 v[14:15], v[14:15], s[22:23]
	v_pk_fma_f32 v[104:105], v[8:9], s[18:19], v[100:101] neg_lo:[1,0,0] neg_hi:[1,0,0]
	v_pk_fma_f32 v[106:107], v[8:9], s[18:19], v[100:101]
	s_nop 0
	v_mov_b32_e32 v105, v107
	v_pk_add_f32 v[94:95], v[94:95], v[104:105]
	v_pk_mul_f32 v[104:105], v[22:23], s[34:35]
	v_pk_mul_f32 v[22:23], v[22:23], s[24:25]
	v_pk_fma_f32 v[108:109], v[10:11], s[12:13], v[104:105] neg_lo:[1,0,0] neg_hi:[1,0,0]
	v_pk_fma_f32 v[110:111], v[10:11], s[12:13], v[104:105]
	s_nop 0
	v_mov_b32_e32 v109, v111
	;; [unrolled: 7-line block ×3, first 2 shown]
	v_pk_add_f32 v[94:95], v[112:113], v[94:95]
	ds_write2_b64 v21, v[72:73], v[94:95] offset0:2 offset1:3
	v_pk_mul_f32 v[72:73], v[4:5], s[2:3]
	s_nop 0
	v_pk_add_f32 v[52:53], v[52:53], v[72:73] neg_lo:[0,1] neg_hi:[0,1]
	s_nop 0
	v_mov_b32_e32 v53, v51
	v_pk_mul_f32 v[50:51], v[6:7], s[14:15]
	v_pk_add_f32 v[52:53], v[0:1], v[52:53]
	v_pk_add_f32 v[50:51], v[56:57], v[50:51] neg_lo:[0,1] neg_hi:[0,1]
	v_pk_fma_f32 v[56:57], v[6:7], s[30:31], v[32:33] neg_lo:[1,0,0] neg_hi:[1,0,0]
	v_mov_b32_e32 v51, v55
	v_pk_add_f32 v[50:51], v[52:53], v[50:51]
	v_pk_mul_f32 v[52:53], v[8:9], s[12:13]
	v_pk_fma_f32 v[54:55], v[4:5], s[4:5], v[24:25]
	v_pk_add_f32 v[52:53], v[60:61], v[52:53] neg_lo:[0,1] neg_hi:[0,1]
	v_pk_fma_f32 v[60:61], v[8:9], s[2:3], v[14:15]
	v_mov_b32_e32 v53, v59
	v_pk_add_f32 v[50:51], v[50:51], v[52:53]
	v_pk_mul_f32 v[52:53], v[10:11], s[4:5]
	v_pk_fma_f32 v[58:59], v[6:7], s[30:31], v[32:33]
	v_pk_add_f32 v[52:53], v[64:65], v[52:53] neg_lo:[0,1] neg_hi:[0,1]
	v_mov_b32_e32 v57, v59
	v_mov_b32_e32 v53, v63
	v_pk_add_f32 v[50:51], v[50:51], v[52:53]
	v_pk_mul_f32 v[52:53], v[12:13], s[18:19]
	v_pk_fma_f32 v[62:63], v[10:11], s[18:19], v[22:23]
	v_pk_add_f32 v[52:53], v[68:69], v[52:53] neg_lo:[0,1] neg_hi:[0,1]
	v_pk_fma_f32 v[64:65], v[12:13], s[20:21], v[26:27]
	v_mov_b32_e32 v53, v67
	v_pk_add_f32 v[50:51], v[52:53], v[50:51]
	v_pk_fma_f32 v[52:53], v[4:5], s[4:5], v[24:25] neg_lo:[1,0,0] neg_hi:[1,0,0]
	v_pk_fma_f32 v[24:25], v[4:5], s[4:5], v[24:25] neg_lo:[0,0,1] neg_hi:[0,0,1]
	v_mov_b32_e32 v53, v55
	v_pk_add_f32 v[52:53], v[0:1], v[52:53]
	v_mov_b32_e32 v55, v25
	v_pk_add_f32 v[52:53], v[52:53], v[56:57]
	v_pk_fma_f32 v[56:57], v[8:9], s[2:3], v[14:15] neg_lo:[1,0,0] neg_hi:[1,0,0]
	v_pk_fma_f32 v[24:25], v[6:7], s[30:31], v[32:33] neg_lo:[0,0,1] neg_hi:[0,0,1]
	v_mov_b32_e32 v57, v61
	v_pk_add_f32 v[52:53], v[52:53], v[56:57]
	v_pk_fma_f32 v[56:57], v[10:11], s[18:19], v[22:23] neg_lo:[1,0,0] neg_hi:[1,0,0]
	v_mov_b32_e32 v59, v25
	v_mov_b32_e32 v57, v63
	v_pk_add_f32 v[24:25], v[0:1], v[54:55]
	v_pk_fma_f32 v[14:15], v[8:9], s[2:3], v[14:15] neg_lo:[0,0,1] neg_hi:[0,0,1]
	v_pk_fma_f32 v[22:23], v[10:11], s[18:19], v[22:23] neg_lo:[0,0,1] neg_hi:[0,0,1]
	v_pk_add_f32 v[52:53], v[52:53], v[56:57]
	v_pk_fma_f32 v[56:57], v[12:13], s[20:21], v[26:27] neg_lo:[1,0,0] neg_hi:[1,0,0]
	v_pk_add_f32 v[24:25], v[24:25], v[58:59]
	v_mov_b32_e32 v61, v15
	v_mov_b32_e32 v63, v23
	v_pk_fma_f32 v[22:23], v[12:13], s[20:21], v[26:27] neg_lo:[0,0,1] neg_hi:[0,0,1]
	v_mov_b32_e32 v57, v65
	v_pk_add_f32 v[14:15], v[24:25], v[60:61]
	v_mov_b32_e32 v65, v23
	v_pk_fma_f32 v[22:23], v[8:9], s[18:19], v[100:101] neg_lo:[0,0,1] neg_hi:[0,0,1]
	v_pk_add_f32 v[14:15], v[14:15], v[62:63]
	v_mov_b32_e32 v107, v23
	v_pk_fma_f32 v[22:23], v[10:11], s[12:13], v[104:105] neg_lo:[0,0,1] neg_hi:[0,0,1]
	;; [unrolled: 3-line block ×3, first 2 shown]
	ds_write2_b64 v21, v[14:15], v[2:3] offset0:6 offset1:7
	v_pk_fma_f32 v[14:15], v[4:5], s[20:21], v[90:91] neg_lo:[0,0,1] neg_hi:[0,0,1]
	v_mov_b32_e32 v115, v23
	v_pk_fma_f32 v[22:23], v[4:5], s[0:1], v[70:71] neg_lo:[0,0,1] neg_hi:[0,0,1]
	v_pk_fma_f32 v[4:5], v[4:5], s[12:13], v[30:31] neg_lo:[0,0,1] neg_hi:[0,0,1]
	v_mov_b32_e32 v97, v15
	v_pk_fma_f32 v[14:15], v[6:7], s[28:29], v[98:99] neg_lo:[0,0,1] neg_hi:[0,0,1]
	v_mov_b32_e32 v75, v23
	;; [unrolled: 2-line block ×4, first 2 shown]
	v_pk_add_f32 v[14:15], v[0:1], v[96:97]
	v_pk_add_f32 v[22:23], v[0:1], v[74:75]
	v_mov_b32_e32 v81, v25
	v_pk_fma_f32 v[24:25], v[8:9], s[28:29], v[78:79] neg_lo:[0,0,1] neg_hi:[0,0,1]
	v_pk_add_f32 v[0:1], v[0:1], v[28:29]
	v_mov_b32_e32 v37, v5
	v_pk_fma_f32 v[4:5], v[8:9], s[20:21], v[38:39] neg_lo:[0,0,1] neg_hi:[0,0,1]
	v_pk_add_f32 v[14:15], v[14:15], v[102:103]
	v_pk_add_f32 v[22:23], v[22:23], v[80:81]
	v_mov_b32_e32 v85, v25
	v_pk_fma_f32 v[24:25], v[10:11], s[14:15], v[82:83] neg_lo:[0,0,1] neg_hi:[0,0,1]
	v_pk_add_f32 v[0:1], v[0:1], v[36:37]
	v_mov_b32_e32 v41, v5
	v_pk_fma_f32 v[4:5], v[10:11], s[2:3], v[44:45] neg_lo:[0,0,1] neg_hi:[0,0,1]
	;; [unrolled: 7-line block ×3, first 2 shown]
	v_pk_add_f32 v[14:15], v[14:15], v[110:111]
	v_pk_add_f32 v[22:23], v[22:23], v[88:89]
	v_mov_b32_e32 v93, v25
	v_pk_add_f32 v[0:1], v[0:1], v[42:43]
	v_mov_b32_e32 v47, v5
	v_pk_add_f32 v[52:53], v[56:57], v[52:53]
	v_pk_add_f32 v[14:15], v[114:115], v[14:15]
	;; [unrolled: 1-line block ×4, first 2 shown]
	ds_write2_b64 v21, v[50:51], v[52:53] offset0:4 offset1:5
	ds_write2_b64 v21, v[14:15], v[22:23] offset0:8 offset1:9
	ds_write_b64 v21, v[0:1] offset:80
.LBB0_13:
	s_or_b64 exec, exec, s[16:17]
	s_movk_i32 s0, 0x75
	v_mul_lo_u16_sdwa v0, v20, s0 dst_sel:DWORD dst_unused:UNUSED_PAD src0_sel:BYTE_0 src1_sel:DWORD
	v_sub_u16_sdwa v1, v20, v0 dst_sel:DWORD dst_unused:UNUSED_PAD src0_sel:DWORD src1_sel:BYTE_1
	v_lshrrev_b16_e32 v1, 1, v1
	v_and_b32_e32 v1, 0x7f, v1
	v_add_u16_sdwa v0, v1, v0 dst_sel:DWORD dst_unused:UNUSED_PAD src0_sel:DWORD src1_sel:BYTE_1
	v_lshrrev_b16_e32 v29, 3, v0
	v_mul_lo_u16_e32 v0, 11, v29
	v_sub_u16_e32 v42, v20, v0
	v_mov_b32_e32 v0, 6
	v_mul_u32_u24_sdwa v0, v42, v0 dst_sel:DWORD dst_unused:UNUSED_PAD src0_sel:BYTE_0 src1_sel:DWORD
	v_lshlrev_b32_e32 v0, 3, v0
	s_load_dwordx2 s[2:3], s[10:11], 0x0
	s_waitcnt lgkmcnt(0)
	s_barrier
	global_load_dwordx4 v[4:7], v0, s[8:9]
	global_load_dwordx4 v[8:11], v0, s[8:9] offset:16
	global_load_dwordx4 v[12:15], v0, s[8:9] offset:32
	v_lshl_add_u32 v21, v20, 3, 0
	v_add_u32_e32 v0, 0x400, v21
	ds_read2_b64 v[22:25], v21 offset1:88
	v_add_u32_e32 v28, 0x800, v21
	ds_read2_b64 v[30:33], v0 offset0:48 offset1:136
	ds_read_b64 v[0:1], v21 offset:4224
	ds_read2_b64 v[34:37], v28 offset0:96 offset1:184
	s_mov_b32 s10, 0x3f3bfb3b
	s_mov_b32 s12, 0xbf3bfb3b
	s_mov_b32 s0, 0x3d64c772
	s_mov_b32 s1, 0xbf08b237
	s_mov_b32 s11, 0x3f5ff5aa
	s_mov_b32 s13, 0xbeae86e6
	s_mov_b32 s4, 0x3f4a47b2
	s_mov_b32 s5, 0x3eae86e6
	s_waitcnt lgkmcnt(0)
	s_barrier
	s_waitcnt vmcnt(2)
	v_mul_f32_e32 v26, v5, v25
	v_mul_f32_e32 v40, v5, v24
	;; [unrolled: 1-line block ×4, first 2 shown]
	s_waitcnt vmcnt(1)
	v_mul_f32_e32 v43, v9, v33
	v_mul_f32_e32 v27, v8, v33
	;; [unrolled: 1-line block ×6, first 2 shown]
	s_waitcnt vmcnt(0)
	v_mul_f32_e32 v35, v13, v37
	v_mul_f32_e32 v11, v13, v36
	;; [unrolled: 1-line block ×4, first 2 shown]
	v_fma_f32 v38, v4, v24, -v26
	v_fmac_f32_e32 v40, v4, v25
	v_fma_f32 v26, v6, v30, -v41
	v_fmac_f32_e32 v5, v6, v31
	v_fma_f32 v24, v8, v32, -v43
	v_fma_f32 v30, v10, v34, -v33
	;; [unrolled: 1-line block ×3, first 2 shown]
	v_fmac_f32_e32 v11, v12, v37
	v_fma_f32 v8, v14, v0, -v13
	v_fmac_f32_e32 v15, v14, v1
	v_add_f32_e32 v31, v40, v15
	v_sub_f32_e32 v14, v38, v8
	v_add_f32_e32 v25, v5, v11
	v_sub_f32_e32 v4, v26, v6
	v_sub_f32_e32 v10, v30, v24
	v_pk_add_f32 v[0:1], v[38:39], v[8:9]
	v_pk_add_f32 v[6:7], v[26:27], v[6:7]
	v_add_f32_e32 v27, v10, v4
	v_sub_f32_e32 v32, v10, v4
	v_sub_f32_e32 v33, v14, v10
	;; [unrolled: 1-line block ×3, first 2 shown]
	v_mov_b32_e32 v4, v1
	v_mov_b32_e32 v10, v7
	v_pk_add_f32 v[8:9], v[6:7], v[0:1]
	v_pk_add_f32 v[12:13], v[24:25], v[30:31]
	v_pk_add_f32 v[10:11], v[4:5], v[10:11] neg_lo:[0,1] neg_hi:[0,1]
	v_sub_f32_e32 v7, v31, v9
	v_sub_f32_e32 v30, v9, v25
	v_pk_add_f32 v[8:9], v[8:9], v[12:13]
	v_sub_f32_e32 v15, v40, v15
	v_sub_f32_e32 v26, v25, v31
	v_add_f32_e32 v13, v10, v11
	v_pk_add_f32 v[4:5], v[8:9], v[22:23]
	v_mul_f32_e32 v23, 0x3f955555, v8
	v_mul_f32_e32 v7, 0x3f4a47b2, v7
	;; [unrolled: 1-line block ×3, first 2 shown]
	v_add_f32_e32 v13, v13, v15
	v_fmamk_f32 v22, v9, 0xbf955555, v5
	v_fma_f32 v8, v26, s10, -v8
	v_fma_f32 v26, v26, s12, -v7
	v_fmac_f32_e32 v7, 0x3d64c772, v30
	v_sub_f32_e32 v1, v6, v0
	v_mul_f32_e32 v9, 0x3ee1c552, v13
	v_add_f32_e32 v35, v7, v22
	v_mov_b32_e32 v13, v10
	v_mov_b32_e32 v7, v11
	v_add_f32_e32 v24, v27, v14
	v_mul_f32_e32 v14, 0x3f3bfb3b, v1
	v_mul_f32_e32 v25, 0xbf08b237, v32
	v_mul_f32_e32 v1, 0x3f5ff5aa, v34
	v_pk_add_f32 v[6:7], v[12:13], v[6:7] neg_lo:[0,1] neg_hi:[0,1]
	v_sub_f32_e32 v32, v11, v15
	v_fma_f32 v27, v34, s11, -v25
	v_fmac_f32_e32 v25, 0x3eae86e6, v33
	v_fma_f32 v33, v33, s13, -v1
	v_mov_b32_e32 v1, v15
	v_pk_mul_f32 v[10:11], v[6:7], s[0:1]
	v_add_f32_e32 v37, v8, v22
	v_add_f32_e32 v39, v26, v22
	v_pk_add_f32 v[0:1], v[0:1], v[12:13] neg_lo:[0,1] neg_hi:[0,1]
	v_mov_b32_e32 v15, v4
	v_mov_b32_e32 v22, v10
	v_pk_mul_f32 v[0:1], v[0:1], s[4:5]
	v_pk_add_f32 v[12:13], v[14:15], v[22:23] neg_lo:[0,1] neg_hi:[0,1]
	v_mul_f32_e32 v31, 0x3f5ff5aa, v32
	v_mov_b32_e32 v8, v13
	v_mov_b32_e32 v30, v0
	;; [unrolled: 1-line block ×3, first 2 shown]
	v_pk_fma_f32 v[6:7], v[6:7], s[0:1], v[0:1]
	v_fma_f32 v11, v32, s11, -v11
	v_mov_b32_e32 v13, v9
	v_mov_b32_e32 v10, v8
	v_pk_add_f32 v[0:1], v[30:31], v[14:15] neg_lo:[1,1] neg_hi:[1,1]
	v_pk_add_f32 v[40:41], v[6:7], v[8:9]
	v_pk_add_f32 v[22:23], v[12:13], v[10:11]
	;; [unrolled: 1-line block ×3, first 2 shown]
	v_mov_b32_e32 v1, 3
	v_fmac_f32_e32 v25, 0x3ee1c552, v24
	v_fmac_f32_e32 v27, 0x3ee1c552, v24
	;; [unrolled: 1-line block ×3, first 2 shown]
	v_mul_u32_u24_e32 v0, 0x268, v29
	v_lshlrev_b32_sdwa v1, v1, v42 dst_sel:DWORD dst_unused:UNUSED_PAD src0_sel:DWORD src1_sel:BYTE_0
	v_mov_b32_e32 v34, v41
	v_mov_b32_e32 v24, v40
	v_mov_b32_e32 v38, v31
	v_mov_b32_e32 v32, v30
	v_mov_b32_e32 v26, v22
	v_mov_b32_e32 v36, v23
	v_add3_u32 v29, 0, v0, v1
	v_pk_add_f32 v[0:1], v[34:35], v[24:25]
	v_pk_add_f32 v[6:7], v[34:35], v[24:25] neg_lo:[0,1] neg_hi:[0,1]
	v_pk_add_f32 v[10:11], v[38:39], v[32:33]
	v_pk_add_f32 v[12:13], v[38:39], v[32:33] neg_lo:[0,1] neg_hi:[0,1]
	v_pk_add_f32 v[14:15], v[22:23], v[36:37] neg_lo:[0,1] neg_hi:[0,1]
	v_pk_add_f32 v[24:25], v[26:27], v[36:37]
	v_pk_add_f32 v[8:9], v[36:37], v[26:27] neg_lo:[0,1] neg_hi:[0,1]
	v_pk_add_f32 v[22:23], v[30:31], v[38:39] neg_lo:[0,1] neg_hi:[0,1]
	;; [unrolled: 1-line block ×3, first 2 shown]
	s_movk_i32 s0, 0x4d
	v_mov_b32_e32 v6, v0
	v_mov_b32_e32 v12, v10
	;; [unrolled: 1-line block ×6, first 2 shown]
	v_cmp_gt_u32_e64 s[0:1], s0, v20
	ds_write2_b64 v29, v[4:5], v[6:7] offset1:11
	ds_write2_b64 v29, v[12:13], v[14:15] offset0:22 offset1:33
	ds_write2_b64 v29, v[8:9], v[22:23] offset0:44 offset1:55
	ds_write_b64 v29, v[26:27] offset:528
	s_waitcnt lgkmcnt(0)
	s_barrier
	s_and_saveexec_b64 s[4:5], s[0:1]
	s_cbranch_execnz .LBB0_16
; %bb.14:
	s_or_b64 exec, exec, s[4:5]
	s_and_b64 s[0:1], vcc, s[0:1]
	s_and_saveexec_b64 s[4:5], s[0:1]
	s_cbranch_execnz .LBB0_17
.LBB0_15:
	s_endpgm
.LBB0_16:
	v_add_u32_e32 v0, 0xc00, v21
	ds_read2_b64 v[8:11], v28 offset0:52 offset1:129
	ds_read2_b64 v[0:3], v0 offset0:78 offset1:155
	;; [unrolled: 1-line block ×3, first 2 shown]
	ds_read2_b64 v[4:7], v21 offset1:77
	s_waitcnt lgkmcnt(2)
	v_mov_b32_e32 v26, v0
	v_mov_b32_e32 v22, v10
	;; [unrolled: 1-line block ×3, first 2 shown]
	s_waitcnt lgkmcnt(1)
	v_mov_b32_e32 v25, v15
	v_mov_b32_e32 v10, v12
	s_waitcnt lgkmcnt(0)
	v_mov_b32_e32 v0, v6
	s_or_b64 exec, exec, s[4:5]
	s_and_b64 s[0:1], vcc, s[0:1]
	s_and_saveexec_b64 s[4:5], s[0:1]
	s_cbranch_execz .LBB0_15
.LBB0_17:
	v_mul_u32_u24_e32 v6, 7, v20
	v_lshlrev_b32_e32 v6, 3, v6
	global_load_dwordx4 v[28:31], v6, s[8:9] offset:544
	global_load_dwordx4 v[32:35], v6, s[8:9] offset:528
	;; [unrolled: 1-line block ×3, first 2 shown]
	global_load_dwordx2 v[40:41], v6, s[8:9] offset:576
	v_mul_lo_u32 v15, s3, v18
	v_mul_lo_u32 v23, s2, v19
	v_mad_u64_u32 v[18:19], s[0:1], s2, v18, 0
	v_add3_u32 v19, v19, v23, v15
	v_lshl_add_u64 v[18:19], v[18:19], 3, s[6:7]
	v_mov_b32_e32 v21, 0
	v_mov_b32_e32 v6, v9
	;; [unrolled: 1-line block ×8, first 2 shown]
	v_lshl_add_u64 v[16:17], v[16:17], 3, v[18:19]
	v_lshl_add_u64 v[16:17], v[20:21], 3, v[16:17]
	s_mov_b32 s0, 0x3f3504f3
	s_waitcnt vmcnt(3)
	v_pk_mul_f32 v[6:7], v[6:7], v[30:31] op_sel_hi:[0,1]
	s_waitcnt vmcnt(2)
	v_pk_mul_f32 v[8:9], v[8:9], v[34:35] op_sel_hi:[0,1]
	;; [unrolled: 2-line block ×3, first 2 shown]
	v_pk_mul_f32 v[18:19], v[42:43], v[28:29] op_sel_hi:[0,1]
	s_waitcnt vmcnt(0)
	v_pk_mul_f32 v[20:21], v[44:45], v[40:41] op_sel_hi:[0,1]
	v_pk_mul_f32 v[42:43], v[46:47], v[32:33] op_sel_hi:[0,1]
	;; [unrolled: 1-line block ×3, first 2 shown]
	v_pk_fma_f32 v[46:47], v[24:25], v[30:31], v[6:7] op_sel:[0,0,1] op_sel_hi:[1,1,0] neg_lo:[0,0,1] neg_hi:[0,0,1]
	v_pk_fma_f32 v[6:7], v[24:25], v[30:31], v[6:7] op_sel:[0,0,1] op_sel_hi:[0,1,0]
	v_pk_fma_f32 v[24:25], v[10:11], v[34:35], v[8:9] op_sel:[0,0,1] op_sel_hi:[1,1,0] neg_lo:[0,0,1] neg_hi:[0,0,1]
	v_pk_fma_f32 v[8:9], v[10:11], v[34:35], v[8:9] op_sel:[0,0,1] op_sel_hi:[0,1,0]
	;; [unrolled: 2-line block ×7, first 2 shown]
	v_mov_b32_e32 v47, v7
	v_mov_b32_e32 v25, v9
	;; [unrolled: 1-line block ×7, first 2 shown]
	v_pk_add_f32 v[0:1], v[4:5], v[46:47] neg_lo:[0,1] neg_hi:[0,1]
	v_pk_add_f32 v[2:3], v[24:25], v[10:11] neg_lo:[0,1] neg_hi:[0,1]
	;; [unrolled: 1-line block ×4, first 2 shown]
	v_pk_fma_f32 v[10:11], v[24:25], 2.0, v[2:3] op_sel_hi:[1,0,1] neg_lo:[0,0,1] neg_hi:[0,0,1]
	v_pk_fma_f32 v[12:13], v[20:21], 2.0, v[8:9] op_sel_hi:[1,0,1] neg_lo:[0,0,1] neg_hi:[0,0,1]
	;; [unrolled: 1-line block ×3, first 2 shown]
	v_pk_add_f32 v[18:19], v[0:1], v[2:3] op_sel:[0,1] op_sel_hi:[1,0] neg_lo:[0,1] neg_hi:[0,1]
	v_pk_add_f32 v[2:3], v[0:1], v[2:3] op_sel:[0,1] op_sel_hi:[1,0]
	v_pk_add_f32 v[20:21], v[8:9], v[6:7] op_sel:[0,1] op_sel_hi:[1,0] neg_lo:[0,1] neg_hi:[0,1]
	v_pk_add_f32 v[6:7], v[8:9], v[6:7] op_sel:[0,1] op_sel_hi:[1,0]
	v_pk_fma_f32 v[4:5], v[4:5], 2.0, v[0:1] op_sel_hi:[1,0,1] neg_lo:[0,0,1] neg_hi:[0,0,1]
	v_mov_b32_e32 v19, v3
	v_mov_b32_e32 v21, v7
	v_pk_add_f32 v[10:11], v[4:5], v[10:11] neg_lo:[0,1] neg_hi:[0,1]
	v_pk_add_f32 v[14:15], v[12:13], v[14:15] neg_lo:[0,1] neg_hi:[0,1]
	v_pk_fma_f32 v[6:7], v[8:9], 2.0, v[20:21] op_sel_hi:[1,0,1] neg_lo:[0,0,1] neg_hi:[0,0,1]
	v_pk_fma_f32 v[0:1], v[0:1], 2.0, v[18:19] op_sel_hi:[1,0,1] neg_lo:[0,0,1] neg_hi:[0,0,1]
	;; [unrolled: 1-line block ×4, first 2 shown]
	v_pk_add_f32 v[8:9], v[10:11], v[14:15] op_sel:[0,1] op_sel_hi:[1,0] neg_lo:[0,1] neg_hi:[0,1]
	v_pk_add_f32 v[12:13], v[10:11], v[14:15] op_sel:[0,1] op_sel_hi:[1,0]
	v_pk_mul_f32 v[14:15], v[20:21], s[0:1] op_sel_hi:[1,0]
	v_pk_fma_f32 v[20:21], v[20:21], s[0:1], v[18:19] op_sel_hi:[1,0,1]
	v_pk_mul_f32 v[22:23], v[6:7], s[0:1] op_sel_hi:[1,0]
	v_pk_fma_f32 v[6:7], v[6:7], s[0:1], v[0:1] op_sel_hi:[1,0,1] neg_lo:[1,0,0] neg_hi:[1,0,0]
	v_pk_add_f32 v[4:5], v[2:3], v[4:5] neg_lo:[0,1] neg_hi:[0,1]
	v_mov_b32_e32 v9, v13
	v_pk_add_f32 v[12:13], v[20:21], v[14:15] op_sel:[0,1] op_sel_hi:[1,0] neg_lo:[0,1] neg_hi:[0,1]
	v_pk_add_f32 v[14:15], v[20:21], v[14:15] op_sel:[0,1] op_sel_hi:[1,0]
	v_pk_add_f32 v[20:21], v[6:7], v[22:23] op_sel:[0,1] op_sel_hi:[1,0] neg_lo:[0,1] neg_hi:[0,1]
	v_pk_add_f32 v[6:7], v[6:7], v[22:23] op_sel:[0,1] op_sel_hi:[1,0]
	v_pk_fma_f32 v[2:3], v[2:3], 2.0, v[4:5] op_sel_hi:[1,0,1] neg_lo:[0,0,1] neg_hi:[0,0,1]
	v_mov_b32_e32 v13, v15
	v_mov_b32_e32 v21, v7
	v_pk_fma_f32 v[10:11], v[10:11], 2.0, v[8:9] op_sel_hi:[1,0,1] neg_lo:[0,0,1] neg_hi:[0,0,1]
	global_store_dwordx2 v[16:17], v[4:5], off offset:2464
	global_store_dwordx2 v[16:17], v[2:3], off
	v_pk_fma_f32 v[2:3], v[18:19], 2.0, v[12:13] op_sel_hi:[1,0,1] neg_lo:[0,0,1] neg_hi:[0,0,1]
	v_pk_fma_f32 v[0:1], v[0:1], 2.0, v[20:21] op_sel_hi:[1,0,1] neg_lo:[0,0,1] neg_hi:[0,0,1]
	global_store_dwordx2 v[16:17], v[10:11], off offset:1232
	global_store_dwordx2 v[16:17], v[2:3], off offset:1848
	;; [unrolled: 1-line block ×5, first 2 shown]
	v_add_co_u32_e32 v0, vcc, 0x1000, v16
	s_nop 1
	v_addc_co_u32_e32 v1, vcc, 0, v17, vcc
	global_store_dwordx2 v[0:1], v[12:13], off offset:216
	s_endpgm
	.section	.rodata,"a",@progbits
	.p2align	6, 0x0
	.amdhsa_kernel fft_rtc_fwd_len616_factors_11_7_8_wgs_88_tpt_88_sp_op_CI_CI_unitstride_sbrr_dirReg
		.amdhsa_group_segment_fixed_size 0
		.amdhsa_private_segment_fixed_size 0
		.amdhsa_kernarg_size 104
		.amdhsa_user_sgpr_count 2
		.amdhsa_user_sgpr_dispatch_ptr 0
		.amdhsa_user_sgpr_queue_ptr 0
		.amdhsa_user_sgpr_kernarg_segment_ptr 1
		.amdhsa_user_sgpr_dispatch_id 0
		.amdhsa_user_sgpr_kernarg_preload_length 0
		.amdhsa_user_sgpr_kernarg_preload_offset 0
		.amdhsa_user_sgpr_private_segment_size 0
		.amdhsa_uses_dynamic_stack 0
		.amdhsa_enable_private_segment 0
		.amdhsa_system_sgpr_workgroup_id_x 1
		.amdhsa_system_sgpr_workgroup_id_y 0
		.amdhsa_system_sgpr_workgroup_id_z 0
		.amdhsa_system_sgpr_workgroup_info 0
		.amdhsa_system_vgpr_workitem_id 0
		.amdhsa_next_free_vgpr 116
		.amdhsa_next_free_sgpr 42
		.amdhsa_accum_offset 116
		.amdhsa_reserve_vcc 1
		.amdhsa_float_round_mode_32 0
		.amdhsa_float_round_mode_16_64 0
		.amdhsa_float_denorm_mode_32 3
		.amdhsa_float_denorm_mode_16_64 3
		.amdhsa_dx10_clamp 1
		.amdhsa_ieee_mode 1
		.amdhsa_fp16_overflow 0
		.amdhsa_tg_split 0
		.amdhsa_exception_fp_ieee_invalid_op 0
		.amdhsa_exception_fp_denorm_src 0
		.amdhsa_exception_fp_ieee_div_zero 0
		.amdhsa_exception_fp_ieee_overflow 0
		.amdhsa_exception_fp_ieee_underflow 0
		.amdhsa_exception_fp_ieee_inexact 0
		.amdhsa_exception_int_div_zero 0
	.end_amdhsa_kernel
	.text
.Lfunc_end0:
	.size	fft_rtc_fwd_len616_factors_11_7_8_wgs_88_tpt_88_sp_op_CI_CI_unitstride_sbrr_dirReg, .Lfunc_end0-fft_rtc_fwd_len616_factors_11_7_8_wgs_88_tpt_88_sp_op_CI_CI_unitstride_sbrr_dirReg
                                        ; -- End function
	.section	.AMDGPU.csdata,"",@progbits
; Kernel info:
; codeLenInByte = 5248
; NumSgprs: 48
; NumVgprs: 116
; NumAgprs: 0
; TotalNumVgprs: 116
; ScratchSize: 0
; MemoryBound: 0
; FloatMode: 240
; IeeeMode: 1
; LDSByteSize: 0 bytes/workgroup (compile time only)
; SGPRBlocks: 5
; VGPRBlocks: 14
; NumSGPRsForWavesPerEU: 48
; NumVGPRsForWavesPerEU: 116
; AccumOffset: 116
; Occupancy: 4
; WaveLimiterHint : 1
; COMPUTE_PGM_RSRC2:SCRATCH_EN: 0
; COMPUTE_PGM_RSRC2:USER_SGPR: 2
; COMPUTE_PGM_RSRC2:TRAP_HANDLER: 0
; COMPUTE_PGM_RSRC2:TGID_X_EN: 1
; COMPUTE_PGM_RSRC2:TGID_Y_EN: 0
; COMPUTE_PGM_RSRC2:TGID_Z_EN: 0
; COMPUTE_PGM_RSRC2:TIDIG_COMP_CNT: 0
; COMPUTE_PGM_RSRC3_GFX90A:ACCUM_OFFSET: 28
; COMPUTE_PGM_RSRC3_GFX90A:TG_SPLIT: 0
	.text
	.p2alignl 6, 3212836864
	.fill 256, 4, 3212836864
	.type	__hip_cuid_6e0a3e845afd60cf,@object ; @__hip_cuid_6e0a3e845afd60cf
	.section	.bss,"aw",@nobits
	.globl	__hip_cuid_6e0a3e845afd60cf
__hip_cuid_6e0a3e845afd60cf:
	.byte	0                               ; 0x0
	.size	__hip_cuid_6e0a3e845afd60cf, 1

	.ident	"AMD clang version 19.0.0git (https://github.com/RadeonOpenCompute/llvm-project roc-6.4.0 25133 c7fe45cf4b819c5991fe208aaa96edf142730f1d)"
	.section	".note.GNU-stack","",@progbits
	.addrsig
	.addrsig_sym __hip_cuid_6e0a3e845afd60cf
	.amdgpu_metadata
---
amdhsa.kernels:
  - .agpr_count:     0
    .args:
      - .actual_access:  read_only
        .address_space:  global
        .offset:         0
        .size:           8
        .value_kind:     global_buffer
      - .offset:         8
        .size:           8
        .value_kind:     by_value
      - .actual_access:  read_only
        .address_space:  global
        .offset:         16
        .size:           8
        .value_kind:     global_buffer
      - .actual_access:  read_only
        .address_space:  global
        .offset:         24
        .size:           8
        .value_kind:     global_buffer
      - .actual_access:  read_only
        .address_space:  global
        .offset:         32
        .size:           8
        .value_kind:     global_buffer
      - .offset:         40
        .size:           8
        .value_kind:     by_value
      - .actual_access:  read_only
        .address_space:  global
        .offset:         48
        .size:           8
        .value_kind:     global_buffer
      - .actual_access:  read_only
        .address_space:  global
        .offset:         56
        .size:           8
        .value_kind:     global_buffer
      - .offset:         64
        .size:           4
        .value_kind:     by_value
      - .actual_access:  read_only
        .address_space:  global
        .offset:         72
        .size:           8
        .value_kind:     global_buffer
      - .actual_access:  read_only
        .address_space:  global
        .offset:         80
        .size:           8
        .value_kind:     global_buffer
      - .actual_access:  read_only
        .address_space:  global
        .offset:         88
        .size:           8
        .value_kind:     global_buffer
      - .actual_access:  write_only
        .address_space:  global
        .offset:         96
        .size:           8
        .value_kind:     global_buffer
    .group_segment_fixed_size: 0
    .kernarg_segment_align: 8
    .kernarg_segment_size: 104
    .language:       OpenCL C
    .language_version:
      - 2
      - 0
    .max_flat_workgroup_size: 88
    .name:           fft_rtc_fwd_len616_factors_11_7_8_wgs_88_tpt_88_sp_op_CI_CI_unitstride_sbrr_dirReg
    .private_segment_fixed_size: 0
    .sgpr_count:     48
    .sgpr_spill_count: 0
    .symbol:         fft_rtc_fwd_len616_factors_11_7_8_wgs_88_tpt_88_sp_op_CI_CI_unitstride_sbrr_dirReg.kd
    .uniform_work_group_size: 1
    .uses_dynamic_stack: false
    .vgpr_count:     116
    .vgpr_spill_count: 0
    .wavefront_size: 64
amdhsa.target:   amdgcn-amd-amdhsa--gfx950
amdhsa.version:
  - 1
  - 2
...

	.end_amdgpu_metadata
